;; amdgpu-corpus repo=ROCm/rocFFT kind=compiled arch=gfx950 opt=O3
	.text
	.amdgcn_target "amdgcn-amd-amdhsa--gfx950"
	.amdhsa_code_object_version 6
	.protected	fft_rtc_back_len50_factors_2_5_5_wgs_125_tpt_5_dim1_sp_op_CI_CI_unitstride_sbrr_R2C_dirReg ; -- Begin function fft_rtc_back_len50_factors_2_5_5_wgs_125_tpt_5_dim1_sp_op_CI_CI_unitstride_sbrr_R2C_dirReg
	.globl	fft_rtc_back_len50_factors_2_5_5_wgs_125_tpt_5_dim1_sp_op_CI_CI_unitstride_sbrr_R2C_dirReg
	.p2align	8
	.type	fft_rtc_back_len50_factors_2_5_5_wgs_125_tpt_5_dim1_sp_op_CI_CI_unitstride_sbrr_R2C_dirReg,@function
fft_rtc_back_len50_factors_2_5_5_wgs_125_tpt_5_dim1_sp_op_CI_CI_unitstride_sbrr_R2C_dirReg: ; @fft_rtc_back_len50_factors_2_5_5_wgs_125_tpt_5_dim1_sp_op_CI_CI_unitstride_sbrr_R2C_dirReg
; %bb.0:
	v_mul_u32_u24_e32 v1, 0x3334, v0
	v_lshrrev_b32_e32 v12, 16, v1
	s_load_dwordx2 s[4:5], s[0:1], 0x0
	s_load_dwordx2 s[8:9], s[0:1], 0x20
	v_mad_u64_u32 v[6:7], s[2:3], s2, 25, v[12:13]
	s_mov_b32 s2, 0x51eb851f
	s_nop 0
	v_mul_hi_u32 v1, v6, s2
	v_lshrrev_b32_e32 v1, 3, v1
	v_mov_b32_e32 v7, 0
	v_mul_lo_u32 v1, v1, 25
	s_movk_i32 s6, 0x3334
	v_sub_u32_e32 v1, v6, v1
	s_waitcnt lgkmcnt(0)
	v_cmp_gt_u64_e32 vcc, s[8:9], v[6:7]
	v_cmp_le_u64_e64 s[2:3], s[8:9], v[6:7]
                                        ; implicit-def: $vgpr3
                                        ; implicit-def: $vgpr2
                                        ; implicit-def: $vgpr4
                                        ; implicit-def: $vgpr10
                                        ; implicit-def: $vgpr8
	s_and_saveexec_b64 s[8:9], s[2:3]
	s_xor_b64 s[2:3], exec, s[8:9]
; %bb.1:
	v_mul_u32_u24_sdwa v2, v0, s6 dst_sel:DWORD dst_unused:UNUSED_PAD src0_sel:WORD_0 src1_sel:DWORD
	v_mov_b32_e32 v3, 5
	v_mul_lo_u16_sdwa v2, v2, v3 dst_sel:DWORD dst_unused:UNUSED_PAD src0_sel:WORD_1 src1_sel:DWORD
	v_sub_u16_e32 v3, v0, v2
	v_sub_u16_e32 v2, v0, v2
	v_add_u32_e32 v4, 5, v2
	v_add_u32_e32 v10, 10, v2
	;; [unrolled: 1-line block ×3, first 2 shown]
                                        ; implicit-def: $vgpr12
                                        ; implicit-def: $vgpr0
; %bb.2:
	s_or_saveexec_b64 s[2:3], s[2:3]
	s_load_dwordx2 s[6:7], s[0:1], 0x18
	v_mul_u32_u24_e32 v1, 51, v1
	v_lshlrev_b32_e32 v1, 3, v1
	s_xor_b64 exec, exec, s[2:3]
	s_cbranch_execz .LBB0_4
; %bb.3:
	s_load_dwordx2 s[8:9], s[0:1], 0x10
	s_load_dwordx2 s[10:11], s[0:1], 0x50
	v_mul_lo_u16_e32 v3, 5, v12
	v_sub_u16_e32 v2, v0, v3
	v_mov_b32_e32 v13, 0
	s_waitcnt lgkmcnt(0)
	s_load_dwordx2 s[8:9], s[8:9], 0x8
	v_lshlrev_b32_e32 v12, 3, v2
	v_sub_u16_e32 v3, v0, v3
	v_add_u32_e32 v10, 10, v2
	v_add3_u32 v0, 0, v1, v12
	s_waitcnt lgkmcnt(0)
	v_mad_u64_u32 v[4:5], s[12:13], s8, v6, 0
	v_mov_b32_e32 v8, v5
	v_mad_u64_u32 v[8:9], s[8:9], s9, v6, v[8:9]
	v_mov_b32_e32 v5, v8
	v_lshl_add_u64 v[4:5], v[4:5], 3, s[10:11]
	v_lshl_add_u64 v[4:5], v[4:5], 0, v[12:13]
	global_load_dwordx2 v[14:15], v[4:5], off
	global_load_dwordx2 v[16:17], v[4:5], off offset:40
	global_load_dwordx2 v[18:19], v[4:5], off offset:80
	;; [unrolled: 1-line block ×9, first 2 shown]
	v_add_u32_e32 v4, 5, v2
	v_add_u32_e32 v8, 20, v2
	s_waitcnt vmcnt(8)
	ds_write2_b64 v0, v[14:15], v[16:17] offset1:5
	s_waitcnt vmcnt(6)
	ds_write2_b64 v0, v[18:19], v[20:21] offset0:10 offset1:15
	s_waitcnt vmcnt(4)
	ds_write2_b64 v0, v[22:23], v[24:25] offset0:20 offset1:25
	;; [unrolled: 2-line block ×4, first 2 shown]
.LBB0_4:
	s_or_b64 exec, exec, s[2:3]
	v_lshlrev_b32_e32 v0, 3, v2
	v_add_u32_e32 v7, 0, v1
	v_add3_u32 v1, 0, v0, v1
	s_waitcnt lgkmcnt(0)
	s_load_dwordx2 s[6:7], s[6:7], 0x8
	s_waitcnt lgkmcnt(0)
	s_barrier
	ds_read2_b64 v[12:15], v1 offset0:15 offset1:20
	ds_read_b64 v[22:23], v1 offset:360
	v_add_u32_e32 v16, v7, v0
	ds_read_b64 v[30:31], v16
	ds_read2_b64 v[18:21], v1 offset0:25 offset1:30
	ds_read2_b64 v[26:29], v1 offset0:5 offset1:10
	v_add_u32_e32 v5, v1, v0
	s_waitcnt lgkmcnt(3)
	v_pk_add_f32 v[32:33], v[14:15], v[22:23] neg_lo:[0,1] neg_hi:[0,1]
	ds_read2_b64 v[22:25], v1 offset0:35 offset1:40
	s_waitcnt lgkmcnt(2)
	v_pk_add_f32 v[18:19], v[30:31], v[18:19] neg_lo:[0,1] neg_hi:[0,1]
	s_waitcnt lgkmcnt(1)
	v_pk_add_f32 v[20:21], v[26:27], v[20:21] neg_lo:[0,1] neg_hi:[0,1]
	v_pk_fma_f32 v[30:31], v[30:31], 2.0, v[18:19] op_sel_hi:[1,0,1] neg_lo:[0,0,1] neg_hi:[0,0,1]
	v_lshl_add_u32 v9, v4, 4, v7
	s_waitcnt lgkmcnt(0)
	v_pk_add_f32 v[24:25], v[12:13], v[24:25] neg_lo:[0,1] neg_hi:[0,1]
	v_pk_add_f32 v[22:23], v[28:29], v[22:23] neg_lo:[0,1] neg_hi:[0,1]
	v_lshl_add_u32 v11, v10, 4, v7
	v_lshl_add_u32 v17, v8, 4, v7
	v_pk_fma_f32 v[14:15], v[14:15], 2.0, v[32:33] op_sel_hi:[1,0,1] neg_lo:[0,0,1] neg_hi:[0,0,1]
	v_pk_fma_f32 v[12:13], v[12:13], 2.0, v[24:25] op_sel_hi:[1,0,1] neg_lo:[0,0,1] neg_hi:[0,0,1]
	;; [unrolled: 1-line block ×4, first 2 shown]
	s_barrier
	ds_write2_b64 v5, v[30:31], v[18:19] offset1:1
	ds_write2_b64 v9, v[26:27], v[20:21] offset1:1
	;; [unrolled: 1-line block ×3, first 2 shown]
	ds_write2_b64 v5, v[12:13], v[24:25] offset0:30 offset1:31
	ds_write2_b64 v17, v[14:15], v[32:33] offset1:1
	v_and_b32_e32 v5, 1, v4
	v_lshlrev_b32_e32 v22, 5, v5
	s_waitcnt lgkmcnt(0)
	s_barrier
	global_load_dwordx4 v[12:15], v22, s[4:5]
	global_load_dwordx4 v[18:21], v22, s[4:5] offset:16
	v_and_b32_e32 v30, 1, v2
	v_lshlrev_b32_e32 v31, 5, v30
	global_load_dwordx4 v[22:25], v31, s[4:5]
	global_load_dwordx4 v[26:29], v31, s[4:5] offset:16
	v_lshrrev_b32_e32 v34, 1, v2
	v_lshlrev_b32_e32 v32, 3, v8
	v_lshrrev_b32_e32 v35, 1, v4
	v_mul_u32_u24_e32 v34, 10, v34
	v_lshlrev_b32_e32 v31, 3, v10
	v_lshlrev_b32_e32 v33, 3, v4
	v_mul_lo_u32 v35, v35, 10
	v_sub_u32_e32 v17, v17, v32
	v_or_b32_e32 v30, v34, v30
	v_sub_u32_e32 v11, v11, v31
	v_sub_u32_e32 v9, v9, v33
	v_or_b32_e32 v5, v35, v5
	v_lshl_add_u32 v56, v30, 3, v7
	ds_read_b64 v[38:39], v17
	ds_read2_b64 v[30:33], v1 offset0:25 offset1:30
	ds_read2_b32 v[40:41], v1 offset0:30 offset1:31
	ds_read2_b64 v[34:37], v1 offset0:35 offset1:40
	ds_read_b64 v[42:43], v9
	ds_read_b64 v[44:45], v11
	ds_read_b64 v[46:47], v1 offset:360
	s_waitcnt lgkmcnt(4)
	v_mov_b32_e32 v48, v41
	s_mov_b32 s8, 0x3f737871
	s_mov_b32 s10, 0x3f167918
	s_mov_b32 s2, 0x3e9e377a
	v_lshl_add_u32 v5, v5, 3, v7
	s_waitcnt vmcnt(3)
	v_pk_mul_f32 v[48:49], v[48:49], v[12:13] op_sel_hi:[0,1]
	s_waitcnt vmcnt(2)
	v_mov_b32_e32 v52, v21
	s_waitcnt lgkmcnt(3)
	v_pk_mul_f32 v[50:51], v[34:35], v[18:19] op_sel:[0,1]
	s_waitcnt lgkmcnt(0)
	v_pk_mul_f32 v[52:53], v[46:47], v[52:53] op_sel_hi:[1,0]
	s_nop 0
	v_pk_fma_f32 v[54:55], v[46:47], v[20:21], v[52:53] op_sel:[0,0,1] op_sel_hi:[1,1,0]
	v_pk_fma_f32 v[20:21], v[46:47], v[20:21], v[52:53] op_sel:[0,0,1] op_sel_hi:[1,0,0] neg_lo:[0,0,1] neg_hi:[0,0,1]
	v_pk_fma_f32 v[46:47], v[34:35], v[18:19], v[50:51] op_sel:[0,0,1] op_sel_hi:[1,1,0]
	v_pk_fma_f32 v[18:19], v[34:35], v[18:19], v[50:51] op_sel:[0,0,1] op_sel_hi:[1,0,0] neg_lo:[0,0,1] neg_hi:[0,0,1]
	v_pk_fma_f32 v[34:35], v[12:13], v[40:41], v[48:49] op_sel:[0,0,1] op_sel_hi:[1,1,0]
	v_mov_b32_e32 v18, v15
	v_pk_fma_f32 v[12:13], v[12:13], v[40:41], v[48:49] op_sel:[0,0,1] op_sel_hi:[1,0,0] neg_lo:[1,0,0] neg_hi:[1,0,0]
	v_pk_mul_f32 v[40:41], v[30:31], v[18:19] op_sel_hi:[1,0]
	v_mov_b32_e32 v47, v19
	v_pk_fma_f32 v[48:49], v[30:31], v[14:15], v[40:41] op_sel:[0,0,1] op_sel_hi:[1,1,0]
	v_pk_fma_f32 v[14:15], v[30:31], v[14:15], v[40:41] op_sel:[0,0,1] op_sel_hi:[1,0,0] neg_lo:[0,0,1] neg_hi:[0,0,1]
	s_waitcnt vmcnt(1)
	v_pk_mul_f32 v[30:31], v[22:23], v[44:45] op_sel:[0,1]
	v_mov_b32_e32 v49, v15
	v_pk_mul_f32 v[14:15], v[24:25], v[38:39] op_sel:[0,1]
	v_pk_fma_f32 v[40:41], v[22:23], v[44:45], v[30:31] op_sel:[0,0,1] op_sel_hi:[1,1,0]
	v_pk_fma_f32 v[18:19], v[24:25], v[38:39], v[14:15] op_sel:[0,0,1] op_sel_hi:[1,1,0]
	v_pk_fma_f32 v[14:15], v[24:25], v[38:39], v[14:15] op_sel:[0,0,1] op_sel_hi:[1,0,0] neg_lo:[1,0,0] neg_hi:[1,0,0]
	v_pk_fma_f32 v[22:23], v[22:23], v[44:45], v[30:31] op_sel:[0,0,1] op_sel_hi:[1,0,0] neg_lo:[1,0,0] neg_hi:[1,0,0]
	v_mov_b32_e32 v19, v15
	s_waitcnt vmcnt(0)
	v_pk_mul_f32 v[14:15], v[26:27], v[32:33] op_sel:[0,1]
	ds_read_b64 v[30:31], v16
	v_mov_b32_e32 v55, v21
	v_pk_fma_f32 v[20:21], v[26:27], v[32:33], v[14:15] op_sel:[0,0,1] op_sel_hi:[1,1,0]
	v_pk_fma_f32 v[14:15], v[26:27], v[32:33], v[14:15] op_sel:[0,0,1] op_sel_hi:[1,0,0] neg_lo:[1,0,0] neg_hi:[1,0,0]
	v_mov_b32_e32 v41, v23
	v_mov_b32_e32 v21, v15
	v_pk_mul_f32 v[14:15], v[28:29], v[36:37] op_sel:[0,1]
	v_pk_add_f32 v[24:25], v[18:19], v[20:21]
	v_pk_fma_f32 v[22:23], v[28:29], v[36:37], v[14:15] op_sel:[0,0,1] op_sel_hi:[1,1,0]
	v_pk_fma_f32 v[14:15], v[28:29], v[36:37], v[14:15] op_sel:[0,0,1] op_sel_hi:[1,0,0] neg_lo:[1,0,0] neg_hi:[1,0,0]
	s_waitcnt lgkmcnt(0)
	v_pk_fma_f32 v[24:25], v[24:25], 0.5, v[30:31] op_sel_hi:[1,0,1] neg_lo:[1,0,0] neg_hi:[1,0,0]
	v_mov_b32_e32 v23, v15
	v_pk_add_f32 v[26:27], v[40:41], v[22:23] neg_lo:[0,1] neg_hi:[0,1]
	v_pk_add_f32 v[32:33], v[18:19], v[20:21] neg_lo:[0,1] neg_hi:[0,1]
	v_pk_mul_f32 v[28:29], v[26:27], s[8:9] op_sel_hi:[1,0]
	v_pk_add_f32 v[38:39], v[40:41], v[18:19] neg_lo:[0,1] neg_hi:[0,1]
	v_pk_add_f32 v[44:45], v[22:23], v[20:21] neg_lo:[0,1] neg_hi:[0,1]
	v_pk_add_f32 v[14:15], v[30:31], v[40:41]
	v_pk_mul_f32 v[36:37], v[32:33], s[10:11] op_sel_hi:[1,0]
	v_pk_add_f32 v[38:39], v[38:39], v[44:45]
	v_pk_add_f32 v[44:45], v[24:25], v[28:29] op_sel:[0,1] op_sel_hi:[1,0] neg_lo:[0,1] neg_hi:[0,1]
	v_pk_add_f32 v[24:25], v[24:25], v[28:29] op_sel:[0,1] op_sel_hi:[1,0]
	v_pk_add_f32 v[14:15], v[14:15], v[18:19]
	v_pk_add_f32 v[24:25], v[24:25], v[36:37] op_sel:[0,1] op_sel_hi:[1,0]
	v_pk_add_f32 v[28:29], v[44:45], v[36:37] op_sel:[0,1] op_sel_hi:[1,0] neg_lo:[0,1] neg_hi:[0,1]
	v_pk_add_f32 v[14:15], v[14:15], v[20:21]
	v_mov_b32_e32 v36, v28
	v_mov_b32_e32 v37, v25
	v_pk_add_f32 v[14:15], v[14:15], v[22:23]
	v_pk_fma_f32 v[36:37], v[38:39], s[2:3], v[36:37] op_sel_hi:[1,0,1]
	s_barrier
	ds_write2_b64 v56, v[14:15], v[36:37] offset1:2
	v_pk_add_f32 v[14:15], v[40:41], v[22:23]
	v_pk_add_f32 v[18:19], v[18:19], v[40:41] neg_lo:[0,1] neg_hi:[0,1]
	v_pk_add_f32 v[20:21], v[20:21], v[22:23] neg_lo:[0,1] neg_hi:[0,1]
	v_pk_fma_f32 v[14:15], v[14:15], 0.5, v[30:31] op_sel_hi:[1,0,1] neg_lo:[1,0,0] neg_hi:[1,0,0]
	v_pk_add_f32 v[18:19], v[18:19], v[20:21]
	v_pk_mul_f32 v[20:21], v[32:33], s[8:9] op_sel_hi:[1,0]
	v_pk_mul_f32 v[22:23], v[26:27], s[10:11] op_sel_hi:[1,0]
	v_pk_add_f32 v[26:27], v[14:15], v[20:21] op_sel:[0,1] op_sel_hi:[1,0]
	v_pk_add_f32 v[14:15], v[14:15], v[20:21] op_sel:[0,1] op_sel_hi:[1,0] neg_lo:[0,1] neg_hi:[0,1]
	v_pk_add_f32 v[20:21], v[26:27], v[22:23] op_sel:[0,1] op_sel_hi:[1,0] neg_lo:[0,1] neg_hi:[0,1]
	v_pk_add_f32 v[14:15], v[14:15], v[22:23] op_sel:[0,1] op_sel_hi:[1,0]
	v_mov_b32_e32 v22, v20
	v_mov_b32_e32 v23, v15
	v_mov_b32_e32 v15, v21
	v_pk_fma_f32 v[22:23], v[18:19], s[2:3], v[22:23] op_sel_hi:[1,0,1]
	v_pk_fma_f32 v[14:15], v[18:19], s[2:3], v[14:15] op_sel_hi:[1,0,1]
	v_mov_b32_e32 v25, v29
	v_mov_b32_e32 v35, v13
	ds_write2_b64 v56, v[22:23], v[14:15] offset0:4 offset1:6
	v_pk_fma_f32 v[14:15], v[38:39], s[2:3], v[24:25] op_sel_hi:[1,0,1]
	ds_write_b64 v56, v[14:15] offset:64
	v_pk_add_f32 v[14:15], v[48:49], v[46:47]
	v_pk_add_f32 v[18:19], v[34:35], v[54:55] neg_lo:[0,1] neg_hi:[0,1]
	v_pk_fma_f32 v[14:15], v[14:15], 0.5, v[42:43] op_sel_hi:[1,0,1] neg_lo:[1,0,0] neg_hi:[1,0,0]
	v_pk_mul_f32 v[20:21], v[18:19], s[8:9] op_sel_hi:[1,0]
	v_pk_add_f32 v[22:23], v[48:49], v[46:47] neg_lo:[0,1] neg_hi:[0,1]
	v_pk_add_f32 v[26:27], v[34:35], v[48:49] neg_lo:[0,1] neg_hi:[0,1]
	;; [unrolled: 1-line block ×3, first 2 shown]
	v_pk_add_f32 v[12:13], v[42:43], v[34:35]
	v_pk_mul_f32 v[24:25], v[22:23], s[10:11] op_sel_hi:[1,0]
	v_pk_add_f32 v[26:27], v[26:27], v[28:29]
	v_pk_add_f32 v[28:29], v[14:15], v[20:21] op_sel:[0,1] op_sel_hi:[1,0] neg_lo:[0,1] neg_hi:[0,1]
	v_pk_add_f32 v[14:15], v[14:15], v[20:21] op_sel:[0,1] op_sel_hi:[1,0]
	v_pk_add_f32 v[12:13], v[12:13], v[48:49]
	v_pk_add_f32 v[14:15], v[14:15], v[24:25] op_sel:[0,1] op_sel_hi:[1,0]
	v_pk_add_f32 v[20:21], v[28:29], v[24:25] op_sel:[0,1] op_sel_hi:[1,0] neg_lo:[0,1] neg_hi:[0,1]
	v_pk_add_f32 v[12:13], v[12:13], v[46:47]
	v_mov_b32_e32 v24, v20
	v_mov_b32_e32 v25, v15
	v_pk_add_f32 v[12:13], v[12:13], v[54:55]
	v_pk_fma_f32 v[24:25], v[26:27], s[2:3], v[24:25] op_sel_hi:[1,0,1]
	ds_write2_b64 v5, v[12:13], v[24:25] offset1:2
	v_pk_add_f32 v[12:13], v[34:35], v[54:55]
	v_pk_add_f32 v[24:25], v[48:49], v[34:35] neg_lo:[0,1] neg_hi:[0,1]
	v_pk_fma_f32 v[12:13], v[12:13], 0.5, v[42:43] op_sel_hi:[1,0,1] neg_lo:[1,0,0] neg_hi:[1,0,0]
	v_pk_add_f32 v[28:29], v[46:47], v[54:55] neg_lo:[0,1] neg_hi:[0,1]
	v_pk_mul_f32 v[22:23], v[22:23], s[8:9] op_sel_hi:[1,0]
	v_pk_add_f32 v[24:25], v[24:25], v[28:29]
	v_pk_mul_f32 v[18:19], v[18:19], s[10:11] op_sel_hi:[1,0]
	v_pk_add_f32 v[28:29], v[12:13], v[22:23] op_sel:[0,1] op_sel_hi:[1,0]
	v_pk_add_f32 v[12:13], v[12:13], v[22:23] op_sel:[0,1] op_sel_hi:[1,0] neg_lo:[0,1] neg_hi:[0,1]
	v_mov_b32_e32 v15, v21
	v_pk_add_f32 v[12:13], v[12:13], v[18:19] op_sel:[0,1] op_sel_hi:[1,0]
	v_pk_add_f32 v[18:19], v[28:29], v[18:19] op_sel:[0,1] op_sel_hi:[1,0] neg_lo:[0,1] neg_hi:[0,1]
	v_mov_b32_e32 v23, v13
	v_mov_b32_e32 v22, v18
	;; [unrolled: 1-line block ×3, first 2 shown]
	v_pk_fma_f32 v[22:23], v[24:25], s[2:3], v[22:23] op_sel_hi:[1,0,1]
	v_pk_fma_f32 v[12:13], v[24:25], s[2:3], v[12:13] op_sel_hi:[1,0,1]
	ds_write2_b64 v5, v[22:23], v[12:13] offset0:4 offset1:6
	v_pk_fma_f32 v[12:13], v[26:27], s[2:3], v[14:15] op_sel_hi:[1,0,1]
	ds_write_b64 v5, v[12:13] offset:64
	v_lshlrev_b32_e32 v12, 2, v2
	v_mov_b32_e32 v13, 0
	v_lshl_add_u64 v[30:31], v[12:13], 3, s[4:5]
	v_lshlrev_b32_e32 v12, 2, v4
	v_lshl_add_u64 v[32:33], v[12:13], 3, s[4:5]
	s_waitcnt lgkmcnt(0)
	s_barrier
	global_load_dwordx4 v[12:15], v[32:33], off offset:64
	global_load_dwordx4 v[18:21], v[32:33], off offset:80
	;; [unrolled: 1-line block ×4, first 2 shown]
	ds_read2_b64 v[30:33], v1 offset0:15 offset1:25
	ds_read2_b64 v[34:37], v1 offset0:30 offset1:35
	;; [unrolled: 1-line block ×3, first 2 shown]
	ds_read_b64 v[42:43], v17
	ds_read_b64 v[44:45], v9
	v_sub_u32_e32 v17, v7, v0
	s_waitcnt vmcnt(3) lgkmcnt(4)
	v_pk_mul_f32 v[46:47], v[12:13], v[30:31] op_sel:[0,1]
	s_nop 0
	v_pk_fma_f32 v[48:49], v[12:13], v[30:31], v[46:47] op_sel:[0,0,1] op_sel_hi:[1,1,0]
	v_pk_fma_f32 v[12:13], v[12:13], v[30:31], v[46:47] op_sel:[0,0,1] op_sel_hi:[1,0,0] neg_lo:[1,0,0] neg_hi:[1,0,0]
	s_nop 0
	v_mov_b32_e32 v12, v15
	v_mov_b32_e32 v49, v13
	v_pk_mul_f32 v[12:13], v[32:33], v[12:13] op_sel_hi:[1,0]
	s_nop 0
	v_pk_fma_f32 v[30:31], v[32:33], v[14:15], v[12:13] op_sel:[0,0,1] op_sel_hi:[1,1,0]
	v_pk_fma_f32 v[12:13], v[32:33], v[14:15], v[12:13] op_sel:[0,0,1] op_sel_hi:[1,0,0] neg_lo:[0,0,1] neg_hi:[0,0,1]
	ds_read_b64 v[32:33], v16
	v_mov_b32_e32 v31, v13
	s_waitcnt vmcnt(2) lgkmcnt(4)
	v_pk_mul_f32 v[12:13], v[36:37], v[18:19] op_sel:[0,1]
	s_nop 0
	v_pk_fma_f32 v[14:15], v[36:37], v[18:19], v[12:13] op_sel:[0,0,1] op_sel_hi:[1,1,0]
	v_pk_fma_f32 v[12:13], v[36:37], v[18:19], v[12:13] op_sel:[0,0,1] op_sel_hi:[1,0,0] neg_lo:[0,0,1] neg_hi:[0,0,1]
	s_nop 0
	v_mov_b32_e32 v12, v21
	v_mov_b32_e32 v15, v13
	s_waitcnt lgkmcnt(3)
	v_pk_mul_f32 v[12:13], v[40:41], v[12:13] op_sel_hi:[1,0]
	s_nop 0
	v_pk_fma_f32 v[18:19], v[40:41], v[20:21], v[12:13] op_sel:[0,0,1] op_sel_hi:[1,1,0]
	v_pk_fma_f32 v[12:13], v[40:41], v[20:21], v[12:13] op_sel:[0,0,1] op_sel_hi:[1,0,0] neg_lo:[0,0,1] neg_hi:[0,0,1]
	ds_read_b64 v[20:21], v11
	s_waitcnt lgkmcnt(0)
	s_barrier
	v_mov_b32_e32 v19, v13
	s_waitcnt vmcnt(1)
	v_pk_mul_f32 v[36:37], v[22:23], v[20:21] op_sel:[0,1]
	v_pk_add_f32 v[12:13], v[44:45], v[48:49]
	v_pk_fma_f32 v[40:41], v[22:23], v[20:21], v[36:37] op_sel:[0,0,1] op_sel_hi:[1,1,0]
	v_pk_fma_f32 v[20:21], v[22:23], v[20:21], v[36:37] op_sel:[0,0,1] op_sel_hi:[1,0,0] neg_lo:[1,0,0] neg_hi:[1,0,0]
	v_pk_add_f32 v[12:13], v[12:13], v[30:31]
	v_mov_b32_e32 v41, v21
	v_pk_mul_f32 v[20:21], v[24:25], v[42:43] op_sel:[0,1]
	v_pk_add_f32 v[12:13], v[12:13], v[14:15]
	v_pk_fma_f32 v[22:23], v[24:25], v[42:43], v[20:21] op_sel:[0,0,1] op_sel_hi:[1,1,0]
	v_pk_fma_f32 v[20:21], v[24:25], v[42:43], v[20:21] op_sel:[0,0,1] op_sel_hi:[1,0,0] neg_lo:[1,0,0] neg_hi:[1,0,0]
	v_pk_add_f32 v[12:13], v[12:13], v[18:19]
	v_mov_b32_e32 v23, v21
	s_waitcnt vmcnt(0)
	v_pk_mul_f32 v[20:21], v[26:27], v[34:35] op_sel:[0,1]
	v_pk_add_f32 v[46:47], v[40:41], v[22:23] neg_lo:[0,1] neg_hi:[0,1]
	v_pk_fma_f32 v[24:25], v[26:27], v[34:35], v[20:21] op_sel:[0,0,1] op_sel_hi:[1,1,0]
	v_pk_fma_f32 v[20:21], v[26:27], v[34:35], v[20:21] op_sel:[0,0,1] op_sel_hi:[1,0,0] neg_lo:[1,0,0] neg_hi:[1,0,0]
	s_nop 0
	v_mov_b32_e32 v25, v21
	v_pk_mul_f32 v[20:21], v[28:29], v[38:39] op_sel:[0,1]
	s_nop 0
	v_pk_fma_f32 v[26:27], v[28:29], v[38:39], v[20:21] op_sel:[0,0,1] op_sel_hi:[1,1,0]
	v_pk_fma_f32 v[20:21], v[28:29], v[38:39], v[20:21] op_sel:[0,0,1] op_sel_hi:[1,0,0] neg_lo:[1,0,0] neg_hi:[1,0,0]
	v_pk_add_f32 v[28:29], v[22:23], v[24:25]
	v_mov_b32_e32 v27, v21
	v_pk_add_f32 v[34:35], v[40:41], v[26:27] neg_lo:[0,1] neg_hi:[0,1]
	v_pk_fma_f32 v[28:29], v[28:29], 0.5, v[32:33] op_sel_hi:[1,0,1] neg_lo:[1,0,0] neg_hi:[1,0,0]
	v_pk_mul_f32 v[36:37], v[34:35], s[8:9] op_sel_hi:[1,0]
	v_pk_add_f32 v[38:39], v[22:23], v[24:25] neg_lo:[0,1] neg_hi:[0,1]
	v_pk_add_f32 v[50:51], v[26:27], v[24:25] neg_lo:[0,1] neg_hi:[0,1]
	v_pk_add_f32 v[20:21], v[32:33], v[40:41]
	v_pk_mul_f32 v[42:43], v[38:39], s[10:11] op_sel_hi:[1,0]
	v_pk_add_f32 v[46:47], v[46:47], v[50:51]
	v_pk_add_f32 v[50:51], v[28:29], v[36:37] op_sel:[0,1] op_sel_hi:[1,0] neg_lo:[0,1] neg_hi:[0,1]
	v_pk_add_f32 v[28:29], v[28:29], v[36:37] op_sel:[0,1] op_sel_hi:[1,0]
	v_pk_add_f32 v[20:21], v[20:21], v[22:23]
	v_pk_add_f32 v[28:29], v[28:29], v[42:43] op_sel:[0,1] op_sel_hi:[1,0]
	v_pk_add_f32 v[36:37], v[50:51], v[42:43] op_sel:[0,1] op_sel_hi:[1,0] neg_lo:[0,1] neg_hi:[0,1]
	v_pk_add_f32 v[20:21], v[20:21], v[24:25]
	v_mov_b32_e32 v42, v36
	v_mov_b32_e32 v43, v29
	v_pk_add_f32 v[20:21], v[20:21], v[26:27]
	v_pk_fma_f32 v[42:43], v[46:47], s[2:3], v[42:43] op_sel_hi:[1,0,1]
	ds_write2_b64 v1, v[20:21], v[42:43] offset1:10
	v_pk_add_f32 v[20:21], v[40:41], v[26:27]
	v_pk_add_f32 v[22:23], v[22:23], v[40:41] neg_lo:[0,1] neg_hi:[0,1]
	v_pk_add_f32 v[24:25], v[24:25], v[26:27] neg_lo:[0,1] neg_hi:[0,1]
	v_pk_fma_f32 v[20:21], v[20:21], 0.5, v[32:33] op_sel_hi:[1,0,1] neg_lo:[1,0,0] neg_hi:[1,0,0]
	v_pk_add_f32 v[22:23], v[22:23], v[24:25]
	v_pk_mul_f32 v[24:25], v[38:39], s[8:9] op_sel_hi:[1,0]
	v_pk_mul_f32 v[26:27], v[34:35], s[10:11] op_sel_hi:[1,0]
	v_pk_add_f32 v[32:33], v[20:21], v[24:25] op_sel:[0,1] op_sel_hi:[1,0]
	v_pk_add_f32 v[20:21], v[20:21], v[24:25] op_sel:[0,1] op_sel_hi:[1,0] neg_lo:[0,1] neg_hi:[0,1]
	v_pk_add_f32 v[24:25], v[32:33], v[26:27] op_sel:[0,1] op_sel_hi:[1,0] neg_lo:[0,1] neg_hi:[0,1]
	v_pk_add_f32 v[20:21], v[20:21], v[26:27] op_sel:[0,1] op_sel_hi:[1,0]
	v_mov_b32_e32 v26, v24
	v_mov_b32_e32 v27, v21
	;; [unrolled: 1-line block ×3, first 2 shown]
	v_pk_fma_f32 v[26:27], v[22:23], s[2:3], v[26:27] op_sel_hi:[1,0,1]
	v_pk_fma_f32 v[20:21], v[22:23], s[2:3], v[20:21] op_sel_hi:[1,0,1]
	v_mov_b32_e32 v29, v37
	ds_write2_b64 v1, v[26:27], v[20:21] offset0:20 offset1:30
	v_pk_fma_f32 v[20:21], v[46:47], s[2:3], v[28:29] op_sel_hi:[1,0,1]
	ds_write_b64 v1, v[20:21] offset:320
	v_pk_add_f32 v[20:21], v[30:31], v[14:15]
	v_pk_add_f32 v[22:23], v[48:49], v[18:19] neg_lo:[0,1] neg_hi:[0,1]
	v_pk_fma_f32 v[20:21], v[20:21], 0.5, v[44:45] op_sel_hi:[1,0,1] neg_lo:[1,0,0] neg_hi:[1,0,0]
	v_pk_mul_f32 v[24:25], v[22:23], s[8:9] op_sel_hi:[1,0]
	v_pk_add_f32 v[26:27], v[30:31], v[14:15] neg_lo:[0,1] neg_hi:[0,1]
	v_pk_add_f32 v[32:33], v[48:49], v[30:31] neg_lo:[0,1] neg_hi:[0,1]
	;; [unrolled: 1-line block ×3, first 2 shown]
	v_pk_mul_f32 v[28:29], v[26:27], s[10:11] op_sel_hi:[1,0]
	v_pk_add_f32 v[32:33], v[32:33], v[34:35]
	v_pk_add_f32 v[34:35], v[20:21], v[24:25] op_sel:[0,1] op_sel_hi:[1,0] neg_lo:[0,1] neg_hi:[0,1]
	v_pk_add_f32 v[20:21], v[20:21], v[24:25] op_sel:[0,1] op_sel_hi:[1,0]
	v_pk_add_f32 v[24:25], v[34:35], v[28:29] op_sel:[0,1] op_sel_hi:[1,0] neg_lo:[0,1] neg_hi:[0,1]
	v_pk_add_f32 v[20:21], v[20:21], v[28:29] op_sel:[0,1] op_sel_hi:[1,0]
	v_mov_b32_e32 v28, v24
	v_mov_b32_e32 v29, v21
	v_pk_fma_f32 v[28:29], v[32:33], s[2:3], v[28:29] op_sel_hi:[1,0,1]
	ds_write2_b64 v9, v[12:13], v[28:29] offset1:10
	v_pk_add_f32 v[12:13], v[48:49], v[18:19]
	v_pk_add_f32 v[14:15], v[14:15], v[18:19] neg_lo:[0,1] neg_hi:[0,1]
	v_pk_fma_f32 v[12:13], v[12:13], 0.5, v[44:45] op_sel_hi:[1,0,1] neg_lo:[1,0,0] neg_hi:[1,0,0]
	v_pk_mul_f32 v[18:19], v[26:27], s[8:9] op_sel_hi:[1,0]
	v_pk_mul_f32 v[22:23], v[22:23], s[10:11] op_sel_hi:[1,0]
	v_pk_add_f32 v[26:27], v[12:13], v[18:19] op_sel:[0,1] op_sel_hi:[1,0]
	v_pk_add_f32 v[12:13], v[12:13], v[18:19] op_sel:[0,1] op_sel_hi:[1,0] neg_lo:[0,1] neg_hi:[0,1]
	v_pk_add_f32 v[28:29], v[30:31], v[48:49] neg_lo:[0,1] neg_hi:[0,1]
	v_pk_add_f32 v[12:13], v[12:13], v[22:23] op_sel:[0,1] op_sel_hi:[1,0]
	v_pk_add_f32 v[18:19], v[26:27], v[22:23] op_sel:[0,1] op_sel_hi:[1,0] neg_lo:[0,1] neg_hi:[0,1]
	v_pk_add_f32 v[14:15], v[28:29], v[14:15]
	v_mov_b32_e32 v22, v18
	v_mov_b32_e32 v23, v13
	v_mov_b32_e32 v13, v19
	v_pk_fma_f32 v[22:23], v[14:15], s[2:3], v[22:23] op_sel_hi:[1,0,1]
	v_pk_fma_f32 v[12:13], v[14:15], s[2:3], v[12:13] op_sel_hi:[1,0,1]
	v_mov_b32_e32 v21, v25
	ds_write2_b64 v9, v[22:23], v[12:13] offset0:20 offset1:30
	v_pk_fma_f32 v[12:13], v[32:33], s[2:3], v[20:21] op_sel_hi:[1,0,1]
	ds_write_b64 v9, v[12:13] offset:320
	s_waitcnt lgkmcnt(0)
	s_barrier
	ds_read_b64 v[14:15], v16
	v_cmp_ne_u16_e64 s[2:3], 0, v3
                                        ; implicit-def: $vgpr1
                                        ; implicit-def: $vgpr12_vgpr13
	s_and_saveexec_b64 s[8:9], s[2:3]
	s_xor_b64 s[2:3], exec, s[8:9]
	s_cbranch_execz .LBB0_6
; %bb.5:
	v_mov_b32_e32 v0, 3
	v_lshlrev_b32_sdwa v0, v0, v3 dst_sel:DWORD dst_unused:UNUSED_PAD src0_sel:DWORD src1_sel:WORD_0
	global_load_dwordx2 v[12:13], v0, s[4:5] offset:384
	ds_read_b64 v[0:1], v17 offset:400
	v_mov_b32_e32 v19, 0.5
	v_mov_b32_e32 v20, v19
	s_waitcnt lgkmcnt(0)
	v_pk_add_f32 v[22:23], v[0:1], v[14:15]
	v_pk_add_f32 v[0:1], v[14:15], v[0:1] neg_lo:[0,1] neg_hi:[0,1]
	v_mov_b32_e32 v14, v23
	v_mov_b32_e32 v15, v0
	v_pk_mul_f32 v[14:15], v[14:15], 0.5 op_sel_hi:[1,0]
	s_waitcnt vmcnt(0)
	v_mov_b32_e32 v18, v13
	v_mov_b32_e32 v0, v15
	;; [unrolled: 1-line block ×4, first 2 shown]
	v_pk_mul_f32 v[0:1], v[18:19], v[0:1]
	v_pk_mul_f32 v[24:25], v[12:13], v[14:15] op_sel_hi:[0,1]
	v_pk_fma_f32 v[18:19], v[22:23], v[20:21], v[0:1]
	v_pk_fma_f32 v[20:21], v[22:23], v[20:21], v[0:1] neg_lo:[0,0,1] neg_hi:[0,0,1]
	v_pk_fma_f32 v[0:1], v[12:13], v[14:15], v[18:19] op_sel_hi:[0,1,1] neg_lo:[1,0,0] neg_hi:[1,0,0]
	v_pk_fma_f32 v[12:13], v[12:13], v[14:15], v[20:21] op_sel_hi:[0,1,1] neg_lo:[1,0,0] neg_hi:[1,0,0]
	v_add_f32_e32 v0, v18, v24
                                        ; implicit-def: $vgpr14_vgpr15
.LBB0_6:
	s_andn2_saveexec_b64 s[2:3], s[2:3]
	s_cbranch_execz .LBB0_8
; %bb.7:
	ds_read_b32 v1, v7 offset:204
	s_waitcnt lgkmcnt(1)
	v_mov_b32_e32 v12, v15
	v_pk_add_f32 v[12:13], v[14:15], v[12:13] neg_lo:[0,1] neg_hi:[0,1]
	v_add_f32_e32 v0, v15, v14
	v_mov_b32_e32 v13, 0
	s_waitcnt lgkmcnt(0)
	v_xor_b32_e32 v1, 0x80000000, v1
	ds_write_b32 v7, v1 offset:204
	v_mov_b32_e32 v1, v13
.LBB0_8:
	s_or_b64 exec, exec, s[2:3]
	v_mov_b32_e32 v5, 0
	s_waitcnt lgkmcnt(0)
	v_lshl_add_u64 v[14:15], v[4:5], 3, s[4:5]
	global_load_dwordx2 v[14:15], v[14:15], off offset:384
	v_mov_b32_e32 v11, v5
	v_lshl_add_u64 v[18:19], v[10:11], 3, s[4:5]
	global_load_dwordx2 v[18:19], v[18:19], off offset:384
	s_add_u32 s2, s4, 0x180
	s_addc_u32 s3, s5, 0
	v_mov_b32_e32 v3, v5
	v_lshl_add_u64 v[20:21], v[2:3], 3, s[2:3]
	global_load_dwordx2 v[20:21], v[20:21], off offset:120
	v_mov_b32_e32 v9, v5
	v_lshl_add_u64 v[22:23], v[8:9], 3, s[4:5]
	global_load_dwordx2 v[22:23], v[22:23], off offset:384
	ds_write_b64 v16, v[0:1]
	ds_write_b64 v17, v[12:13] offset:400
	v_lshl_add_u32 v3, v4, 3, v7
	ds_read_b64 v[0:1], v3
	ds_read_b64 v[12:13], v17 offset:360
	v_mov_b32_e32 v11, 0.5
	v_mov_b32_e32 v24, v11
	v_lshl_add_u32 v4, v10, 3, v7
	s_waitcnt lgkmcnt(0)
	v_pk_add_f32 v[26:27], v[0:1], v[12:13]
	v_pk_add_f32 v[0:1], v[0:1], v[12:13] neg_lo:[0,1] neg_hi:[0,1]
	v_mov_b32_e32 v12, v27
	v_mov_b32_e32 v13, v0
	v_pk_mul_f32 v[12:13], v[12:13], 0.5 op_sel_hi:[1,0]
	s_waitcnt vmcnt(3)
	v_mov_b32_e32 v25, v15
	v_mov_b32_e32 v27, v12
	;; [unrolled: 1-line block ×4, first 2 shown]
	v_pk_mul_f32 v[24:25], v[26:27], v[24:25]
	s_waitcnt vmcnt(1)
	v_mov_b32_e32 v9, v21
	v_pk_fma_f32 v[26:27], v[10:11], v[0:1], v[24:25] neg_lo:[1,0,0] neg_hi:[1,0,0]
	v_pk_fma_f32 v[0:1], v[10:11], v[0:1], v[24:25]
	v_pk_fma_f32 v[24:25], v[14:15], v[12:13], v[26:27] op_sel_hi:[0,1,1] neg_lo:[1,0,0] neg_hi:[1,0,0]
	v_pk_fma_f32 v[26:27], v[14:15], v[12:13], v[0:1] op_sel_hi:[0,1,1]
	v_pk_fma_f32 v[0:1], v[14:15], v[12:13], v[0:1] op_sel_hi:[0,1,1] neg_lo:[1,0,0] neg_hi:[1,0,0]
	v_mov_b32_e32 v27, v1
	ds_write_b64 v3, v[26:27]
	ds_write_b64 v17, v[24:25] offset:360
	ds_read_b64 v[0:1], v4
	ds_read_b64 v[12:13], v17 offset:320
	v_mov_b32_e32 v14, v11
	v_mov_b32_e32 v15, v19
	;; [unrolled: 1-line block ×3, first 2 shown]
	v_lshl_add_u32 v3, v8, 3, v7
	s_waitcnt lgkmcnt(0)
	v_pk_add_f32 v[24:25], v[0:1], v[12:13]
	v_pk_add_f32 v[0:1], v[0:1], v[12:13] neg_lo:[0,1] neg_hi:[0,1]
	v_mov_b32_e32 v12, v25
	v_mov_b32_e32 v13, v0
	v_pk_mul_f32 v[12:13], v[12:13], 0.5 op_sel_hi:[1,0]
	v_mov_b32_e32 v8, v11
	v_mov_b32_e32 v25, v12
	;; [unrolled: 1-line block ×3, first 2 shown]
	v_pk_mul_f32 v[14:15], v[24:25], v[14:15]
	s_nop 0
	v_pk_fma_f32 v[24:25], v[10:11], v[0:1], v[14:15] neg_lo:[1,0,0] neg_hi:[1,0,0]
	v_pk_fma_f32 v[0:1], v[10:11], v[0:1], v[14:15]
	v_pk_fma_f32 v[14:15], v[18:19], v[12:13], v[24:25] op_sel_hi:[0,1,1] neg_lo:[1,0,0] neg_hi:[1,0,0]
	v_pk_fma_f32 v[24:25], v[18:19], v[12:13], v[0:1] op_sel_hi:[0,1,1]
	v_pk_fma_f32 v[0:1], v[18:19], v[12:13], v[0:1] op_sel_hi:[0,1,1] neg_lo:[1,0,0] neg_hi:[1,0,0]
	v_mov_b32_e32 v25, v1
	ds_write_b64 v4, v[24:25]
	ds_write_b64 v17, v[14:15] offset:320
	ds_read_b64 v[0:1], v16 offset:120
	ds_read_b64 v[12:13], v17 offset:280
	v_mov_b32_e32 v10, v21
	s_waitcnt lgkmcnt(0)
	v_pk_add_f32 v[14:15], v[0:1], v[12:13]
	v_pk_add_f32 v[0:1], v[0:1], v[12:13] neg_lo:[0,1] neg_hi:[0,1]
	v_mov_b32_e32 v12, v15
	v_mov_b32_e32 v13, v0
	v_pk_mul_f32 v[12:13], v[12:13], 0.5 op_sel_hi:[1,0]
	s_nop 0
	v_mov_b32_e32 v15, v12
	v_mov_b32_e32 v0, v13
	v_pk_mul_f32 v[8:9], v[14:15], v[8:9]
	s_nop 0
	v_pk_fma_f32 v[14:15], v[10:11], v[0:1], v[8:9] neg_lo:[1,0,0] neg_hi:[1,0,0]
	v_pk_fma_f32 v[0:1], v[10:11], v[0:1], v[8:9]
	v_pk_fma_f32 v[8:9], v[20:21], v[12:13], v[14:15] op_sel_hi:[0,1,1] neg_lo:[1,0,0] neg_hi:[1,0,0]
	v_pk_fma_f32 v[14:15], v[20:21], v[12:13], v[0:1] op_sel_hi:[0,1,1]
	v_pk_fma_f32 v[0:1], v[20:21], v[12:13], v[0:1] op_sel_hi:[0,1,1] neg_lo:[1,0,0] neg_hi:[1,0,0]
	v_mov_b32_e32 v15, v1
	ds_write_b64 v16, v[14:15] offset:120
	ds_write_b64 v17, v[8:9] offset:280
	ds_read_b64 v[0:1], v3
	ds_read_b64 v[8:9], v17 offset:240
	v_mov_b32_e32 v12, v11
	s_waitcnt vmcnt(0)
	v_mov_b32_e32 v13, v23
	v_mov_b32_e32 v10, v23
	s_waitcnt lgkmcnt(0)
	v_pk_add_f32 v[14:15], v[0:1], v[8:9]
	v_pk_add_f32 v[0:1], v[0:1], v[8:9] neg_lo:[0,1] neg_hi:[0,1]
	v_mov_b32_e32 v8, v15
	v_mov_b32_e32 v9, v0
	v_pk_mul_f32 v[8:9], v[8:9], 0.5 op_sel_hi:[1,0]
	s_nop 0
	v_mov_b32_e32 v15, v8
	v_mov_b32_e32 v0, v9
	v_pk_mul_f32 v[12:13], v[14:15], v[12:13]
	s_nop 0
	v_pk_fma_f32 v[14:15], v[10:11], v[0:1], v[12:13] neg_lo:[1,0,0] neg_hi:[1,0,0]
	v_pk_fma_f32 v[0:1], v[10:11], v[0:1], v[12:13]
	v_pk_fma_f32 v[10:11], v[22:23], v[8:9], v[14:15] op_sel_hi:[0,1,1] neg_lo:[1,0,0] neg_hi:[1,0,0]
	v_pk_fma_f32 v[12:13], v[22:23], v[8:9], v[0:1] op_sel_hi:[0,1,1]
	v_pk_fma_f32 v[0:1], v[22:23], v[8:9], v[0:1] op_sel_hi:[0,1,1] neg_lo:[1,0,0] neg_hi:[1,0,0]
	v_mov_b32_e32 v13, v1
	ds_write_b64 v3, v[12:13]
	ds_write_b64 v17, v[10:11] offset:240
	s_waitcnt lgkmcnt(0)
	s_barrier
	s_and_saveexec_b64 s[2:3], vcc
	s_cbranch_execz .LBB0_11
; %bb.9:
	v_mad_u64_u32 v[0:1], s[2:3], s6, v6, 0
	s_load_dwordx2 s[0:1], s[0:1], 0x58
	v_mov_b32_e32 v4, v1
	v_mad_u64_u32 v[12:13], s[2:3], s7, v6, v[4:5]
	v_lshl_add_u32 v6, v2, 3, v7
	ds_read2_b64 v[8:11], v6 offset1:5
	v_mov_b32_e32 v1, v12
	v_mov_b32_e32 v3, v5
	s_waitcnt lgkmcnt(0)
	v_lshl_add_u64 v[0:1], v[0:1], 3, s[0:1]
	v_lshl_add_u64 v[12:13], v[2:3], 3, v[0:1]
	global_store_dwordx2 v[12:13], v[8:9], off
	ds_read2_b64 v[12:15], v6 offset0:10 offset1:15
	v_add_u32_e32 v4, 5, v2
	v_lshl_add_u64 v[8:9], v[4:5], 3, v[0:1]
	v_add_u32_e32 v4, 10, v2
	global_store_dwordx2 v[8:9], v[10:11], off
	v_lshl_add_u64 v[8:9], v[4:5], 3, v[0:1]
	s_waitcnt lgkmcnt(0)
	global_store_dwordx2 v[8:9], v[12:13], off
	ds_read2_b64 v[8:11], v6 offset0:20 offset1:25
	v_add_u32_e32 v4, 15, v2
	v_lshl_add_u64 v[12:13], v[4:5], 3, v[0:1]
	v_add_u32_e32 v4, 20, v2
	global_store_dwordx2 v[12:13], v[14:15], off
	v_lshl_add_u64 v[12:13], v[4:5], 3, v[0:1]
	s_waitcnt lgkmcnt(0)
	global_store_dwordx2 v[12:13], v[8:9], off
	ds_read2_b64 v[12:15], v6 offset0:30 offset1:35
	v_add_u32_e32 v4, 25, v2
	v_lshl_add_u64 v[8:9], v[4:5], 3, v[0:1]
	v_add_u32_e32 v4, 30, v2
	global_store_dwordx2 v[8:9], v[10:11], off
	v_lshl_add_u64 v[8:9], v[4:5], 3, v[0:1]
	s_waitcnt lgkmcnt(0)
	global_store_dwordx2 v[8:9], v[12:13], off
	ds_read2_b64 v[8:11], v6 offset0:40 offset1:45
	v_add_u32_e32 v4, 35, v2
	v_lshl_add_u64 v[12:13], v[4:5], 3, v[0:1]
	v_add_u32_e32 v4, 40, v2
	global_store_dwordx2 v[12:13], v[14:15], off
	v_lshl_add_u64 v[12:13], v[4:5], 3, v[0:1]
	v_add_u32_e32 v4, 45, v2
	v_lshl_add_u64 v[4:5], v[4:5], 3, v[0:1]
	v_cmp_eq_u32_e32 vcc, 4, v2
	s_waitcnt lgkmcnt(0)
	global_store_dwordx2 v[12:13], v[8:9], off
	global_store_dwordx2 v[4:5], v[10:11], off
	s_and_b64 exec, exec, vcc
	s_cbranch_execz .LBB0_11
; %bb.10:
	ds_read_b64 v[2:3], v6 offset:368
	s_waitcnt lgkmcnt(0)
	global_store_dwordx2 v[0:1], v[2:3], off offset:400
.LBB0_11:
	s_endpgm
	.section	.rodata,"a",@progbits
	.p2align	6, 0x0
	.amdhsa_kernel fft_rtc_back_len50_factors_2_5_5_wgs_125_tpt_5_dim1_sp_op_CI_CI_unitstride_sbrr_R2C_dirReg
		.amdhsa_group_segment_fixed_size 0
		.amdhsa_private_segment_fixed_size 0
		.amdhsa_kernarg_size 96
		.amdhsa_user_sgpr_count 2
		.amdhsa_user_sgpr_dispatch_ptr 0
		.amdhsa_user_sgpr_queue_ptr 0
		.amdhsa_user_sgpr_kernarg_segment_ptr 1
		.amdhsa_user_sgpr_dispatch_id 0
		.amdhsa_user_sgpr_kernarg_preload_length 0
		.amdhsa_user_sgpr_kernarg_preload_offset 0
		.amdhsa_user_sgpr_private_segment_size 0
		.amdhsa_uses_dynamic_stack 0
		.amdhsa_enable_private_segment 0
		.amdhsa_system_sgpr_workgroup_id_x 1
		.amdhsa_system_sgpr_workgroup_id_y 0
		.amdhsa_system_sgpr_workgroup_id_z 0
		.amdhsa_system_sgpr_workgroup_info 0
		.amdhsa_system_vgpr_workitem_id 0
		.amdhsa_next_free_vgpr 57
		.amdhsa_next_free_sgpr 14
		.amdhsa_accum_offset 60
		.amdhsa_reserve_vcc 1
		.amdhsa_float_round_mode_32 0
		.amdhsa_float_round_mode_16_64 0
		.amdhsa_float_denorm_mode_32 3
		.amdhsa_float_denorm_mode_16_64 3
		.amdhsa_dx10_clamp 1
		.amdhsa_ieee_mode 1
		.amdhsa_fp16_overflow 0
		.amdhsa_tg_split 0
		.amdhsa_exception_fp_ieee_invalid_op 0
		.amdhsa_exception_fp_denorm_src 0
		.amdhsa_exception_fp_ieee_div_zero 0
		.amdhsa_exception_fp_ieee_overflow 0
		.amdhsa_exception_fp_ieee_underflow 0
		.amdhsa_exception_fp_ieee_inexact 0
		.amdhsa_exception_int_div_zero 0
	.end_amdhsa_kernel
	.text
.Lfunc_end0:
	.size	fft_rtc_back_len50_factors_2_5_5_wgs_125_tpt_5_dim1_sp_op_CI_CI_unitstride_sbrr_R2C_dirReg, .Lfunc_end0-fft_rtc_back_len50_factors_2_5_5_wgs_125_tpt_5_dim1_sp_op_CI_CI_unitstride_sbrr_R2C_dirReg
                                        ; -- End function
	.section	.AMDGPU.csdata,"",@progbits
; Kernel info:
; codeLenInByte = 4148
; NumSgprs: 20
; NumVgprs: 57
; NumAgprs: 0
; TotalNumVgprs: 57
; ScratchSize: 0
; MemoryBound: 0
; FloatMode: 240
; IeeeMode: 1
; LDSByteSize: 0 bytes/workgroup (compile time only)
; SGPRBlocks: 2
; VGPRBlocks: 7
; NumSGPRsForWavesPerEU: 20
; NumVGPRsForWavesPerEU: 57
; AccumOffset: 60
; Occupancy: 8
; WaveLimiterHint : 1
; COMPUTE_PGM_RSRC2:SCRATCH_EN: 0
; COMPUTE_PGM_RSRC2:USER_SGPR: 2
; COMPUTE_PGM_RSRC2:TRAP_HANDLER: 0
; COMPUTE_PGM_RSRC2:TGID_X_EN: 1
; COMPUTE_PGM_RSRC2:TGID_Y_EN: 0
; COMPUTE_PGM_RSRC2:TGID_Z_EN: 0
; COMPUTE_PGM_RSRC2:TIDIG_COMP_CNT: 0
; COMPUTE_PGM_RSRC3_GFX90A:ACCUM_OFFSET: 14
; COMPUTE_PGM_RSRC3_GFX90A:TG_SPLIT: 0
	.text
	.p2alignl 6, 3212836864
	.fill 256, 4, 3212836864
	.type	__hip_cuid_37ef6c2198316e43,@object ; @__hip_cuid_37ef6c2198316e43
	.section	.bss,"aw",@nobits
	.globl	__hip_cuid_37ef6c2198316e43
__hip_cuid_37ef6c2198316e43:
	.byte	0                               ; 0x0
	.size	__hip_cuid_37ef6c2198316e43, 1

	.ident	"AMD clang version 19.0.0git (https://github.com/RadeonOpenCompute/llvm-project roc-6.4.0 25133 c7fe45cf4b819c5991fe208aaa96edf142730f1d)"
	.section	".note.GNU-stack","",@progbits
	.addrsig
	.addrsig_sym __hip_cuid_37ef6c2198316e43
	.amdgpu_metadata
---
amdhsa.kernels:
  - .agpr_count:     0
    .args:
      - .actual_access:  read_only
        .address_space:  global
        .offset:         0
        .size:           8
        .value_kind:     global_buffer
      - .actual_access:  read_only
        .address_space:  global
        .offset:         8
        .size:           8
        .value_kind:     global_buffer
      - .actual_access:  read_only
        .address_space:  global
        .offset:         16
        .size:           8
        .value_kind:     global_buffer
      - .actual_access:  read_only
        .address_space:  global
        .offset:         24
        .size:           8
        .value_kind:     global_buffer
      - .offset:         32
        .size:           8
        .value_kind:     by_value
      - .actual_access:  read_only
        .address_space:  global
        .offset:         40
        .size:           8
        .value_kind:     global_buffer
      - .actual_access:  read_only
        .address_space:  global
        .offset:         48
        .size:           8
        .value_kind:     global_buffer
      - .offset:         56
        .size:           4
        .value_kind:     by_value
      - .actual_access:  read_only
        .address_space:  global
        .offset:         64
        .size:           8
        .value_kind:     global_buffer
      - .actual_access:  read_only
        .address_space:  global
        .offset:         72
        .size:           8
        .value_kind:     global_buffer
      - .actual_access:  read_only
        .address_space:  global
        .offset:         80
        .size:           8
        .value_kind:     global_buffer
      - .actual_access:  write_only
        .address_space:  global
        .offset:         88
        .size:           8
        .value_kind:     global_buffer
    .group_segment_fixed_size: 0
    .kernarg_segment_align: 8
    .kernarg_segment_size: 96
    .language:       OpenCL C
    .language_version:
      - 2
      - 0
    .max_flat_workgroup_size: 125
    .name:           fft_rtc_back_len50_factors_2_5_5_wgs_125_tpt_5_dim1_sp_op_CI_CI_unitstride_sbrr_R2C_dirReg
    .private_segment_fixed_size: 0
    .sgpr_count:     20
    .sgpr_spill_count: 0
    .symbol:         fft_rtc_back_len50_factors_2_5_5_wgs_125_tpt_5_dim1_sp_op_CI_CI_unitstride_sbrr_R2C_dirReg.kd
    .uniform_work_group_size: 1
    .uses_dynamic_stack: false
    .vgpr_count:     57
    .vgpr_spill_count: 0
    .wavefront_size: 64
amdhsa.target:   amdgcn-amd-amdhsa--gfx950
amdhsa.version:
  - 1
  - 2
...

	.end_amdgpu_metadata
